;; amdgpu-corpus repo=ROCm/rocFFT kind=compiled arch=gfx1030 opt=O3
	.text
	.amdgcn_target "amdgcn-amd-amdhsa--gfx1030"
	.amdhsa_code_object_version 6
	.protected	fft_rtc_fwd_len1452_factors_11_3_11_4_wgs_132_tpt_132_halfLds_dp_op_CI_CI_unitstride_sbrr_dirReg ; -- Begin function fft_rtc_fwd_len1452_factors_11_3_11_4_wgs_132_tpt_132_halfLds_dp_op_CI_CI_unitstride_sbrr_dirReg
	.globl	fft_rtc_fwd_len1452_factors_11_3_11_4_wgs_132_tpt_132_halfLds_dp_op_CI_CI_unitstride_sbrr_dirReg
	.p2align	8
	.type	fft_rtc_fwd_len1452_factors_11_3_11_4_wgs_132_tpt_132_halfLds_dp_op_CI_CI_unitstride_sbrr_dirReg,@function
fft_rtc_fwd_len1452_factors_11_3_11_4_wgs_132_tpt_132_halfLds_dp_op_CI_CI_unitstride_sbrr_dirReg: ; @fft_rtc_fwd_len1452_factors_11_3_11_4_wgs_132_tpt_132_halfLds_dp_op_CI_CI_unitstride_sbrr_dirReg
; %bb.0:
	s_clause 0x2
	s_load_dwordx4 s[8:11], s[4:5], 0x0
	s_load_dwordx4 s[12:15], s[4:5], 0x58
	;; [unrolled: 1-line block ×3, first 2 shown]
	v_mul_u32_u24_e32 v2, 0x1f1, v0
	v_mov_b32_e32 v1, 0
	v_mov_b32_e32 v4, 0
	;; [unrolled: 1-line block ×3, first 2 shown]
	v_add_nc_u32_sdwa v6, s6, v2 dst_sel:DWORD dst_unused:UNUSED_PAD src0_sel:DWORD src1_sel:WORD_1
	v_mov_b32_e32 v7, v1
	s_waitcnt lgkmcnt(0)
	v_cmp_lt_u64_e64 s0, s[10:11], 2
	s_and_b32 vcc_lo, exec_lo, s0
	s_cbranch_vccnz .LBB0_8
; %bb.1:
	s_load_dwordx2 s[0:1], s[4:5], 0x10
	v_mov_b32_e32 v4, 0
	v_mov_b32_e32 v5, 0
	s_add_u32 s2, s18, 8
	s_addc_u32 s3, s19, 0
	s_add_u32 s6, s16, 8
	s_addc_u32 s7, s17, 0
	v_mov_b32_e32 v61, v5
	v_mov_b32_e32 v60, v4
	s_mov_b64 s[22:23], 1
	s_waitcnt lgkmcnt(0)
	s_add_u32 s20, s0, 8
	s_addc_u32 s21, s1, 0
.LBB0_2:                                ; =>This Inner Loop Header: Depth=1
	s_load_dwordx2 s[24:25], s[20:21], 0x0
                                        ; implicit-def: $vgpr62_vgpr63
	s_mov_b32 s0, exec_lo
	s_waitcnt lgkmcnt(0)
	v_or_b32_e32 v2, s25, v7
	v_cmpx_ne_u64_e32 0, v[1:2]
	s_xor_b32 s1, exec_lo, s0
	s_cbranch_execz .LBB0_4
; %bb.3:                                ;   in Loop: Header=BB0_2 Depth=1
	v_cvt_f32_u32_e32 v2, s24
	v_cvt_f32_u32_e32 v3, s25
	s_sub_u32 s0, 0, s24
	s_subb_u32 s26, 0, s25
	v_fmac_f32_e32 v2, 0x4f800000, v3
	v_rcp_f32_e32 v2, v2
	v_mul_f32_e32 v2, 0x5f7ffffc, v2
	v_mul_f32_e32 v3, 0x2f800000, v2
	v_trunc_f32_e32 v3, v3
	v_fmac_f32_e32 v2, 0xcf800000, v3
	v_cvt_u32_f32_e32 v3, v3
	v_cvt_u32_f32_e32 v2, v2
	v_mul_lo_u32 v8, s0, v3
	v_mul_hi_u32 v9, s0, v2
	v_mul_lo_u32 v10, s26, v2
	v_add_nc_u32_e32 v8, v9, v8
	v_mul_lo_u32 v9, s0, v2
	v_add_nc_u32_e32 v8, v8, v10
	v_mul_hi_u32 v10, v2, v9
	v_mul_lo_u32 v11, v2, v8
	v_mul_hi_u32 v12, v2, v8
	v_mul_hi_u32 v13, v3, v9
	v_mul_lo_u32 v9, v3, v9
	v_mul_hi_u32 v14, v3, v8
	v_mul_lo_u32 v8, v3, v8
	v_add_co_u32 v10, vcc_lo, v10, v11
	v_add_co_ci_u32_e32 v11, vcc_lo, 0, v12, vcc_lo
	v_add_co_u32 v9, vcc_lo, v10, v9
	v_add_co_ci_u32_e32 v9, vcc_lo, v11, v13, vcc_lo
	v_add_co_ci_u32_e32 v10, vcc_lo, 0, v14, vcc_lo
	v_add_co_u32 v8, vcc_lo, v9, v8
	v_add_co_ci_u32_e32 v9, vcc_lo, 0, v10, vcc_lo
	v_add_co_u32 v2, vcc_lo, v2, v8
	v_add_co_ci_u32_e32 v3, vcc_lo, v3, v9, vcc_lo
	v_mul_hi_u32 v8, s0, v2
	v_mul_lo_u32 v10, s26, v2
	v_mul_lo_u32 v9, s0, v3
	v_add_nc_u32_e32 v8, v8, v9
	v_mul_lo_u32 v9, s0, v2
	v_add_nc_u32_e32 v8, v8, v10
	v_mul_hi_u32 v10, v2, v9
	v_mul_lo_u32 v11, v2, v8
	v_mul_hi_u32 v12, v2, v8
	v_mul_hi_u32 v13, v3, v9
	v_mul_lo_u32 v9, v3, v9
	v_mul_hi_u32 v14, v3, v8
	v_mul_lo_u32 v8, v3, v8
	v_add_co_u32 v10, vcc_lo, v10, v11
	v_add_co_ci_u32_e32 v11, vcc_lo, 0, v12, vcc_lo
	v_add_co_u32 v9, vcc_lo, v10, v9
	v_add_co_ci_u32_e32 v9, vcc_lo, v11, v13, vcc_lo
	v_add_co_ci_u32_e32 v10, vcc_lo, 0, v14, vcc_lo
	v_add_co_u32 v8, vcc_lo, v9, v8
	v_add_co_ci_u32_e32 v9, vcc_lo, 0, v10, vcc_lo
	v_add_co_u32 v8, vcc_lo, v2, v8
	v_add_co_ci_u32_e32 v10, vcc_lo, v3, v9, vcc_lo
	v_mul_hi_u32 v12, v6, v8
	v_mad_u64_u32 v[8:9], null, v7, v8, 0
	v_mad_u64_u32 v[2:3], null, v6, v10, 0
	;; [unrolled: 1-line block ×3, first 2 shown]
	v_add_co_u32 v2, vcc_lo, v12, v2
	v_add_co_ci_u32_e32 v3, vcc_lo, 0, v3, vcc_lo
	v_add_co_u32 v2, vcc_lo, v2, v8
	v_add_co_ci_u32_e32 v2, vcc_lo, v3, v9, vcc_lo
	v_add_co_ci_u32_e32 v3, vcc_lo, 0, v11, vcc_lo
	v_add_co_u32 v8, vcc_lo, v2, v10
	v_add_co_ci_u32_e32 v9, vcc_lo, 0, v3, vcc_lo
	v_mul_lo_u32 v10, s25, v8
	v_mad_u64_u32 v[2:3], null, s24, v8, 0
	v_mul_lo_u32 v11, s24, v9
	v_sub_co_u32 v2, vcc_lo, v6, v2
	v_add3_u32 v3, v3, v11, v10
	v_sub_nc_u32_e32 v10, v7, v3
	v_subrev_co_ci_u32_e64 v10, s0, s25, v10, vcc_lo
	v_add_co_u32 v11, s0, v8, 2
	v_add_co_ci_u32_e64 v12, s0, 0, v9, s0
	v_sub_co_u32 v13, s0, v2, s24
	v_sub_co_ci_u32_e32 v3, vcc_lo, v7, v3, vcc_lo
	v_subrev_co_ci_u32_e64 v10, s0, 0, v10, s0
	v_cmp_le_u32_e32 vcc_lo, s24, v13
	v_cmp_eq_u32_e64 s0, s25, v3
	v_cndmask_b32_e64 v13, 0, -1, vcc_lo
	v_cmp_le_u32_e32 vcc_lo, s25, v10
	v_cndmask_b32_e64 v14, 0, -1, vcc_lo
	v_cmp_le_u32_e32 vcc_lo, s24, v2
	;; [unrolled: 2-line block ×3, first 2 shown]
	v_cndmask_b32_e64 v15, 0, -1, vcc_lo
	v_cmp_eq_u32_e32 vcc_lo, s25, v10
	v_cndmask_b32_e64 v2, v15, v2, s0
	v_cndmask_b32_e32 v10, v14, v13, vcc_lo
	v_add_co_u32 v13, vcc_lo, v8, 1
	v_add_co_ci_u32_e32 v14, vcc_lo, 0, v9, vcc_lo
	v_cmp_ne_u32_e32 vcc_lo, 0, v10
	v_cndmask_b32_e32 v3, v14, v12, vcc_lo
	v_cndmask_b32_e32 v10, v13, v11, vcc_lo
	v_cmp_ne_u32_e32 vcc_lo, 0, v2
	v_cndmask_b32_e32 v63, v9, v3, vcc_lo
	v_cndmask_b32_e32 v62, v8, v10, vcc_lo
.LBB0_4:                                ;   in Loop: Header=BB0_2 Depth=1
	s_andn2_saveexec_b32 s0, s1
	s_cbranch_execz .LBB0_6
; %bb.5:                                ;   in Loop: Header=BB0_2 Depth=1
	v_cvt_f32_u32_e32 v2, s24
	s_sub_i32 s1, 0, s24
	v_mov_b32_e32 v63, v1
	v_rcp_iflag_f32_e32 v2, v2
	v_mul_f32_e32 v2, 0x4f7ffffe, v2
	v_cvt_u32_f32_e32 v2, v2
	v_mul_lo_u32 v3, s1, v2
	v_mul_hi_u32 v3, v2, v3
	v_add_nc_u32_e32 v2, v2, v3
	v_mul_hi_u32 v2, v6, v2
	v_mul_lo_u32 v3, v2, s24
	v_add_nc_u32_e32 v8, 1, v2
	v_sub_nc_u32_e32 v3, v6, v3
	v_subrev_nc_u32_e32 v9, s24, v3
	v_cmp_le_u32_e32 vcc_lo, s24, v3
	v_cndmask_b32_e32 v3, v3, v9, vcc_lo
	v_cndmask_b32_e32 v2, v2, v8, vcc_lo
	v_cmp_le_u32_e32 vcc_lo, s24, v3
	v_add_nc_u32_e32 v8, 1, v2
	v_cndmask_b32_e32 v62, v2, v8, vcc_lo
.LBB0_6:                                ;   in Loop: Header=BB0_2 Depth=1
	s_or_b32 exec_lo, exec_lo, s0
	v_mul_lo_u32 v8, v63, s24
	v_mul_lo_u32 v9, v62, s25
	s_load_dwordx2 s[0:1], s[6:7], 0x0
	v_mad_u64_u32 v[2:3], null, v62, s24, 0
	s_load_dwordx2 s[24:25], s[2:3], 0x0
	s_add_u32 s22, s22, 1
	s_addc_u32 s23, s23, 0
	s_add_u32 s2, s2, 8
	s_addc_u32 s3, s3, 0
	s_add_u32 s6, s6, 8
	v_add3_u32 v3, v3, v9, v8
	v_sub_co_u32 v2, vcc_lo, v6, v2
	s_addc_u32 s7, s7, 0
	s_add_u32 s20, s20, 8
	v_sub_co_ci_u32_e32 v3, vcc_lo, v7, v3, vcc_lo
	s_addc_u32 s21, s21, 0
	s_waitcnt lgkmcnt(0)
	v_mul_lo_u32 v6, s0, v3
	v_mul_lo_u32 v7, s1, v2
	v_mad_u64_u32 v[4:5], null, s0, v2, v[4:5]
	v_mul_lo_u32 v3, s24, v3
	v_mul_lo_u32 v8, s25, v2
	v_mad_u64_u32 v[60:61], null, s24, v2, v[60:61]
	v_cmp_ge_u64_e64 s0, s[22:23], s[10:11]
	v_add3_u32 v5, v7, v5, v6
	v_add3_u32 v61, v8, v61, v3
	s_and_b32 vcc_lo, exec_lo, s0
	s_cbranch_vccnz .LBB0_9
; %bb.7:                                ;   in Loop: Header=BB0_2 Depth=1
	v_mov_b32_e32 v6, v62
	v_mov_b32_e32 v7, v63
	s_branch .LBB0_2
.LBB0_8:
	v_mov_b32_e32 v61, v5
	v_mov_b32_e32 v63, v7
	;; [unrolled: 1-line block ×4, first 2 shown]
.LBB0_9:
	s_load_dwordx2 s[0:1], s[4:5], 0x28
	v_mul_hi_u32 v1, 0x1f07c20, v0
	s_lshl_b64 s[4:5], s[10:11], 3
                                        ; implicit-def: $vgpr72
	s_add_u32 s2, s18, s4
	s_addc_u32 s3, s19, s5
	s_waitcnt lgkmcnt(0)
	v_cmp_gt_u64_e32 vcc_lo, s[0:1], v[62:63]
	v_cmp_le_u64_e64 s0, s[0:1], v[62:63]
	s_and_saveexec_b32 s1, s0
	s_xor_b32 s0, exec_lo, s1
; %bb.10:
	v_mul_u32_u24_e32 v1, 0x84, v1
                                        ; implicit-def: $vgpr4_vgpr5
	v_sub_nc_u32_e32 v72, v0, v1
                                        ; implicit-def: $vgpr1
                                        ; implicit-def: $vgpr0
; %bb.11:
	s_or_saveexec_b32 s1, s0
                                        ; implicit-def: $vgpr42_vgpr43
                                        ; implicit-def: $vgpr34_vgpr35
                                        ; implicit-def: $vgpr22_vgpr23
                                        ; implicit-def: $vgpr26_vgpr27
                                        ; implicit-def: $vgpr6_vgpr7
                                        ; implicit-def: $vgpr2_vgpr3
                                        ; implicit-def: $vgpr10_vgpr11
                                        ; implicit-def: $vgpr18_vgpr19
                                        ; implicit-def: $vgpr30_vgpr31
                                        ; implicit-def: $vgpr38_vgpr39
                                        ; implicit-def: $vgpr14_vgpr15
	s_xor_b32 exec_lo, exec_lo, s1
	s_cbranch_execz .LBB0_13
; %bb.12:
	s_add_u32 s4, s16, s4
	s_addc_u32 s5, s17, s5
	s_load_dwordx2 s[4:5], s[4:5], 0x0
	s_waitcnt lgkmcnt(0)
	v_mul_lo_u32 v6, s5, v62
	v_mul_lo_u32 v7, s4, v63
	v_mad_u64_u32 v[2:3], null, s4, v62, 0
	v_add3_u32 v3, v3, v7, v6
	v_mul_u32_u24_e32 v6, 0x84, v1
	v_lshlrev_b64 v[1:2], 4, v[2:3]
	v_lshlrev_b64 v[3:4], 4, v[4:5]
	v_sub_nc_u32_e32 v72, v0, v6
	v_add_co_u32 v0, s0, s12, v1
	v_add_co_ci_u32_e64 v1, s0, s13, v2, s0
	v_lshlrev_b32_e32 v2, 4, v72
	v_add_co_u32 v0, s0, v0, v3
	v_add_co_ci_u32_e64 v1, s0, v1, v4, s0
	v_add_co_u32 v0, s0, v0, v2
	v_add_co_ci_u32_e64 v1, s0, 0, v1, s0
	;; [unrolled: 2-line block ×10, first 2 shown]
	s_clause 0x5
	global_load_dwordx4 v[12:15], v[0:1], off
	global_load_dwordx4 v[40:43], v[2:3], off offset:64
	global_load_dwordx4 v[32:35], v[4:5], off offset:128
	;; [unrolled: 1-line block ×5, first 2 shown]
	v_add_co_u32 v2, s0, 0x4800, v0
	v_add_co_ci_u32_e64 v3, s0, 0, v1, s0
	v_add_co_u32 v0, s0, 0x5000, v0
	v_add_co_ci_u32_e64 v1, s0, 0, v1, s0
	s_clause 0x4
	global_load_dwordx4 v[24:27], v[16:17], off offset:384
	global_load_dwordx4 v[16:19], v[18:19], off offset:448
	;; [unrolled: 1-line block ×5, first 2 shown]
.LBB0_13:
	s_or_b32 exec_lo, exec_lo, s1
	s_waitcnt vmcnt(9)
	v_add_f64 v[44:45], v[40:41], v[12:13]
	s_waitcnt vmcnt(0)
	v_add_f64 v[46:47], v[40:41], v[0:1]
	s_mov_b32 s4, 0xd9c712b6
	s_mov_b32 s6, 0x640f44db
	s_mov_b32 s5, 0x3fda9628
	s_mov_b32 s10, 0x7f775887
	s_mov_b32 s7, 0xbfc2375f
	s_mov_b32 s12, 0x9bcd5057
	s_mov_b32 s11, 0xbfe4f49e
	s_mov_b32 s13, 0xbfeeb42a
	v_add_f64 v[48:49], v[42:43], -v[2:3]
	v_add_f64 v[50:51], v[32:33], v[4:5]
	s_mov_b32 s16, 0x8764f0ba
	s_mov_b32 s17, 0x3feaeb8c
	;; [unrolled: 1-line block ×10, first 2 shown]
	v_add_f64 v[44:45], v[32:33], v[44:45]
	v_mul_f64 v[70:71], v[46:47], s[4:5]
	v_mul_f64 v[75:76], v[46:47], s[6:7]
	;; [unrolled: 1-line block ×5, first 2 shown]
	v_add_f64 v[52:53], v[34:35], -v[6:7]
	s_mov_b32 s25, 0xbfd207e7
	v_add_f64 v[54:55], v[8:9], v[36:37]
	s_mov_b32 s37, 0xbfed1bb4
	s_mov_b32 s23, 0xbfe82f19
	;; [unrolled: 1-line block ×5, first 2 shown]
	v_mul_f64 v[73:74], v[50:51], s[10:11]
	v_mul_f64 v[81:82], v[50:51], s[12:13]
	;; [unrolled: 1-line block ×5, first 2 shown]
	s_mov_b32 s19, 0xbfefac9e
	s_mov_b32 s28, 0xf8bb580b
	;; [unrolled: 1-line block ×3, first 2 shown]
	v_add_f64 v[44:45], v[36:37], v[44:45]
	v_fma_f64 v[111:112], v[48:49], s[20:21], v[70:71]
	v_fma_f64 v[113:114], v[48:49], s[26:27], v[75:76]
	;; [unrolled: 1-line block ×4, first 2 shown]
	s_mov_b32 s29, 0x3fe14ced
	s_mov_b32 s35, 0xbfe14ced
	;; [unrolled: 1-line block ×3, first 2 shown]
	v_fma_f64 v[70:71], v[48:49], s[36:37], v[70:71]
	v_fma_f64 v[77:78], v[48:49], s[22:23], v[77:78]
	;; [unrolled: 1-line block ×6, first 2 shown]
	v_add_f64 v[56:57], v[38:39], -v[10:11]
	v_add_f64 v[58:59], v[16:17], v[28:29]
	v_mul_f64 v[83:84], v[54:55], s[12:13]
	v_mul_f64 v[85:86], v[54:55], s[4:5]
	;; [unrolled: 1-line block ×5, first 2 shown]
	v_fma_f64 v[54:55], v[52:53], s[0:1], v[73:74]
	v_add_f64 v[44:45], v[28:29], v[44:45]
	v_fma_f64 v[121:122], v[52:53], s[24:25], v[81:82]
	v_fma_f64 v[123:124], v[52:53], s[18:19], v[95:96]
	v_fma_f64 v[125:126], v[52:53], s[34:35], v[97:98]
	v_fma_f64 v[127:128], v[52:53], s[20:21], v[50:51]
	v_fma_f64 v[50:51], v[52:53], s[36:37], v[50:51]
	v_fma_f64 v[73:74], v[52:53], s[22:23], v[73:74]
	v_fma_f64 v[81:82], v[52:53], s[30:31], v[81:82]
	v_fma_f64 v[95:96], v[52:53], s[26:27], v[95:96]
	v_fma_f64 v[52:53], v[52:53], s[28:29], v[97:98]
	v_add_f64 v[97:98], v[111:112], v[12:13]
	v_add_f64 v[111:112], v[113:114], v[12:13]
	;; [unrolled: 1-line block ×10, first 2 shown]
	v_add_f64 v[64:65], v[30:31], -v[18:19]
	v_add_f64 v[66:67], v[20:21], v[24:25]
	v_add_f64 v[44:45], v[20:21], v[44:45]
	v_mul_f64 v[87:88], v[58:59], s[6:7]
	v_mul_f64 v[89:90], v[58:59], s[16:17]
	;; [unrolled: 1-line block ×5, first 2 shown]
	v_fma_f64 v[58:59], v[56:57], s[24:25], v[83:84]
	v_fma_f64 v[119:120], v[56:57], s[36:37], v[85:86]
	;; [unrolled: 1-line block ×4, first 2 shown]
	v_add_f64 v[54:55], v[54:55], v[97:98]
	v_add_f64 v[97:98], v[121:122], v[111:112]
	v_fma_f64 v[133:134], v[56:57], s[26:27], v[48:49]
	v_fma_f64 v[48:49], v[56:57], s[18:19], v[48:49]
	;; [unrolled: 1-line block ×6, first 2 shown]
	v_add_f64 v[101:102], v[123:124], v[113:114]
	v_add_f64 v[111:112], v[125:126], v[115:116]
	;; [unrolled: 1-line block ×9, first 2 shown]
	v_add_f64 v[68:69], v[22:23], -v[26:27]
	v_mul_f64 v[91:92], v[66:67], s[16:17]
	v_mul_f64 v[93:94], v[66:67], s[10:11]
	;; [unrolled: 1-line block ×5, first 2 shown]
	v_fma_f64 v[66:67], v[64:65], s[18:19], v[87:88]
	v_fma_f64 v[77:78], v[64:65], s[28:29], v[89:90]
	v_add_f64 v[54:55], v[58:59], v[54:55]
	v_add_f64 v[58:59], v[119:120], v[97:98]
	v_fma_f64 v[79:80], v[64:65], s[30:31], v[103:104]
	v_fma_f64 v[81:82], v[64:65], s[36:37], v[105:106]
	;; [unrolled: 1-line block ×3, first 2 shown]
	v_add_f64 v[97:98], v[129:130], v[101:102]
	v_add_f64 v[101:102], v[131:132], v[111:112]
	v_fma_f64 v[46:47], v[64:65], s[22:23], v[46:47]
	v_fma_f64 v[87:88], v[64:65], s[26:27], v[87:88]
	v_add_f64 v[44:45], v[16:17], v[44:45]
	v_fma_f64 v[89:90], v[64:65], s[34:35], v[89:90]
	v_fma_f64 v[103:104], v[64:65], s[24:25], v[103:104]
	;; [unrolled: 1-line block ×3, first 2 shown]
	v_add_f64 v[70:71], v[83:84], v[70:71]
	v_add_f64 v[73:74], v[99:100], v[73:74]
	;; [unrolled: 1-line block ×6, first 2 shown]
	v_fma_f64 v[48:49], v[68:69], s[34:35], v[91:92]
	v_fma_f64 v[75:76], v[68:69], s[0:1], v[93:94]
	;; [unrolled: 1-line block ×3, first 2 shown]
	v_add_f64 v[54:55], v[66:67], v[54:55]
	v_add_f64 v[58:59], v[77:78], v[58:59]
	v_fma_f64 v[85:86], v[68:69], s[26:27], v[109:110]
	v_fma_f64 v[99:100], v[68:69], s[30:31], v[50:51]
	;; [unrolled: 1-line block ×3, first 2 shown]
	v_add_f64 v[66:67], v[79:80], v[97:98]
	v_add_f64 v[77:78], v[81:82], v[101:102]
	v_fma_f64 v[91:92], v[68:69], s[28:29], v[91:92]
	v_fma_f64 v[93:94], v[68:69], s[22:23], v[93:94]
	v_add_f64 v[44:45], v[8:9], v[44:45]
	v_fma_f64 v[107:108], v[68:69], s[20:21], v[107:108]
	v_fma_f64 v[68:69], v[68:69], s[18:19], v[109:110]
	s_load_dwordx2 s[2:3], s[2:3], 0x0
	v_add_f64 v[70:71], v[87:88], v[70:71]
	v_add_f64 v[73:74], v[103:104], v[73:74]
	;; [unrolled: 1-line block ×6, first 2 shown]
	v_cmp_gt_u32_e64 s0, 0x58, v72
	v_add_f64 v[46:47], v[48:49], v[54:55]
	v_add_f64 v[48:49], v[75:76], v[58:59]
	;; [unrolled: 1-line block ×11, first 2 shown]
	v_mad_u32_u24 v12, 0x58, v72, 0
	v_mad_i32_i24 v73, 0xffffffb0, v72, v12
	v_add_nc_u32_e32 v13, 0x800, v73
	v_add_nc_u32_e32 v75, 0x1c00, v73
	v_add_f64 v[44:45], v[0:1], v[44:45]
	v_add_nc_u32_e32 v74, 0x1000, v73
	ds_write2_b64 v12, v[46:47], v[48:49] offset0:2 offset1:3
	ds_write2_b64 v12, v[54:55], v[58:59] offset0:4 offset1:5
	;; [unrolled: 1-line block ×4, first 2 shown]
	ds_write_b64 v12, v[66:67] offset:80
	ds_write2_b64 v12, v[44:45], v[76:77] offset1:1
	s_waitcnt lgkmcnt(0)
	s_barrier
	buffer_gl0_inv
	ds_read2_b64 v[44:47], v73 offset1:132
	ds_read_b64 v[68:69], v73 offset:9856
	ds_read2_b64 v[48:51], v13 offset0:8 offset1:228
	ds_read2_b64 v[56:59], v75 offset0:72 offset1:204
	;; [unrolled: 1-line block ×3, first 2 shown]
                                        ; implicit-def: $vgpr70_vgpr71
	s_and_saveexec_b32 s1, s0
	s_cbranch_execz .LBB0_15
; %bb.14:
	ds_read_b64 v[64:65], v73 offset:3168
	ds_read_b64 v[66:67], v73 offset:7040
	;; [unrolled: 1-line block ×3, first 2 shown]
.LBB0_15:
	s_or_b32 exec_lo, exec_lo, s1
	v_add_f64 v[76:77], v[42:43], v[14:15]
	v_add_f64 v[0:1], v[40:41], -v[0:1]
	v_add_f64 v[4:5], v[32:33], -v[4:5]
	;; [unrolled: 1-line block ×3, first 2 shown]
	v_add_f64 v[36:37], v[42:43], v[2:3]
	v_add_f64 v[20:21], v[20:21], -v[24:25]
	v_add_f64 v[16:17], v[28:29], -v[16:17]
	v_add_f64 v[28:29], v[34:35], v[6:7]
	v_add_f64 v[40:41], v[22:23], v[26:27]
	s_waitcnt lgkmcnt(0)
	s_barrier
	buffer_gl0_inv
	v_add_f64 v[76:77], v[34:35], v[76:77]
	v_mul_f64 v[24:25], v[0:1], s[34:35]
	v_mul_f64 v[42:43], v[0:1], s[36:37]
	;; [unrolled: 1-line block ×3, first 2 shown]
	v_add_f64 v[34:35], v[10:11], v[38:39]
	v_mul_f64 v[80:81], v[4:5], s[36:37]
	v_mul_f64 v[82:83], v[4:5], s[22:23]
	;; [unrolled: 1-line block ×15, first 2 shown]
	v_add_f64 v[32:33], v[38:39], v[76:77]
	v_mul_f64 v[76:77], v[0:1], s[18:19]
	v_mul_f64 v[0:1], v[0:1], s[24:25]
	v_add_f64 v[38:39], v[18:19], v[30:31]
	v_fma_f64 v[106:107], v[36:37], s[16:17], v[24:25]
	v_fma_f64 v[108:109], v[36:37], s[4:5], v[42:43]
	v_fma_f64 v[42:43], v[36:37], s[4:5], -v[42:43]
	v_fma_f64 v[112:113], v[36:37], s[10:11], v[78:79]
	v_fma_f64 v[78:79], v[36:37], s[10:11], -v[78:79]
	v_fma_f64 v[24:25], v[36:37], s[16:17], -v[24:25]
	v_fma_f64 v[116:117], v[28:29], s[10:11], v[82:83]
	v_fma_f64 v[82:83], v[28:29], s[10:11], -v[82:83]
	v_fma_f64 v[118:119], v[28:29], s[12:13], v[84:85]
	;; [unrolled: 2-line block ×6, first 2 shown]
	v_fma_f64 v[92:93], v[34:35], s[16:17], -v[92:93]
	v_add_f64 v[30:31], v[30:31], v[32:33]
	v_fma_f64 v[110:111], v[36:37], s[6:7], v[76:77]
	v_fma_f64 v[114:115], v[36:37], s[12:13], v[0:1]
	v_fma_f64 v[0:1], v[36:37], s[12:13], -v[0:1]
	v_fma_f64 v[76:77], v[36:37], s[6:7], -v[76:77]
	v_mul_f64 v[32:33], v[8:9], s[30:31]
	v_mul_f64 v[8:9], v[8:9], s[22:23]
	v_fma_f64 v[36:37], v[28:29], s[4:5], v[80:81]
	v_fma_f64 v[80:81], v[28:29], s[4:5], -v[80:81]
	v_add_f64 v[28:29], v[106:107], v[14:15]
	v_add_f64 v[106:107], v[108:109], v[14:15]
	;; [unrolled: 1-line block ×11, first 2 shown]
	v_fma_f64 v[114:115], v[34:35], s[12:13], v[32:33]
	v_fma_f64 v[32:33], v[34:35], s[12:13], -v[32:33]
	v_fma_f64 v[128:129], v[34:35], s[10:11], v[8:9]
	v_fma_f64 v[8:9], v[34:35], s[10:11], -v[8:9]
	v_add_f64 v[28:29], v[36:37], v[28:29]
	v_add_f64 v[36:37], v[82:83], v[42:43]
	;; [unrolled: 1-line block ×3, first 2 shown]
	v_mul_f64 v[30:31], v[20:21], s[22:23]
	v_mul_f64 v[24:25], v[20:21], s[20:21]
	;; [unrolled: 1-line block ×3, first 2 shown]
	v_add_f64 v[22:23], v[26:27], v[22:23]
	v_fma_f64 v[26:27], v[34:35], s[6:7], v[88:89]
	v_fma_f64 v[88:89], v[34:35], s[6:7], -v[88:89]
	v_add_f64 v[34:35], v[116:117], v[106:107]
	v_add_f64 v[42:43], v[118:119], v[108:109]
	;; [unrolled: 1-line block ×7, first 2 shown]
	v_fma_f64 v[76:77], v[38:39], s[10:11], -v[94:95]
	v_fma_f64 v[80:81], v[38:39], s[6:7], v[96:97]
	v_fma_f64 v[84:85], v[38:39], s[6:7], -v[96:97]
	v_fma_f64 v[96:97], v[38:39], s[16:17], -v[98:99]
	v_fma_f64 v[106:107], v[38:39], s[4:5], v[16:17]
	v_add_f64 v[32:33], v[32:33], v[36:37]
	v_fma_f64 v[16:17], v[38:39], s[4:5], -v[16:17]
	v_add_f64 v[18:19], v[18:19], v[22:23]
	v_fma_f64 v[22:23], v[38:39], s[10:11], v[94:95]
	v_fma_f64 v[94:95], v[38:39], s[16:17], v[98:99]
	v_add_f64 v[26:27], v[26:27], v[28:29]
	v_add_f64 v[28:29], v[114:115], v[34:35]
	;; [unrolled: 1-line block ×3, first 2 shown]
	v_fma_f64 v[98:99], v[38:39], s[12:13], v[100:101]
	v_add_f64 v[36:37], v[126:127], v[82:83]
	v_add_f64 v[42:43], v[128:129], v[86:87]
	v_fma_f64 v[100:101], v[38:39], s[12:13], -v[100:101]
	v_add_f64 v[38:39], v[92:93], v[78:79]
	v_add_f64 v[0:1], v[8:9], v[0:1]
	;; [unrolled: 1-line block ×4, first 2 shown]
	v_fma_f64 v[14:15], v[40:41], s[12:13], v[102:103]
	v_fma_f64 v[78:79], v[40:41], s[16:17], v[104:105]
	v_fma_f64 v[82:83], v[40:41], s[16:17], -v[104:105]
	v_fma_f64 v[86:87], v[40:41], s[10:11], v[30:31]
	v_fma_f64 v[30:31], v[40:41], s[10:11], -v[30:31]
	;; [unrolled: 2-line block ×3, first 2 shown]
	v_fma_f64 v[90:91], v[40:41], s[6:7], v[20:21]
	v_add_f64 v[10:11], v[10:11], v[18:19]
	v_fma_f64 v[18:19], v[40:41], s[12:13], -v[102:103]
	v_fma_f64 v[40:41], v[40:41], s[6:7], -v[20:21]
	v_add_f64 v[20:21], v[22:23], v[26:27]
	v_add_f64 v[22:23], v[80:81], v[28:29]
	v_add_f64 v[28:29], v[94:95], v[34:35]
	v_add_f64 v[26:27], v[84:85], v[32:33]
	v_add_f64 v[32:33], v[98:99], v[36:37]
	v_add_f64 v[36:37], v[106:107], v[42:43]
	v_add_f64 v[34:35], v[100:101], v[38:39]
	v_add_f64 v[0:1], v[16:17], v[0:1]
	v_add_f64 v[4:5], v[96:97], v[4:5]
	v_add_f64 v[8:9], v[76:77], v[8:9]
	v_add_f64 v[6:7], v[6:7], v[10:11]
	v_add_f64 v[10:11], v[14:15], v[20:21]
	v_add_f64 v[14:15], v[78:79], v[22:23]
	v_add_f64 v[22:23], v[86:87], v[28:29]
	v_add_f64 v[20:21], v[82:83], v[26:27]
	v_add_f64 v[26:27], v[88:89], v[32:33]
	v_add_f64 v[28:29], v[90:91], v[36:37]
	v_add_f64 v[24:25], v[24:25], v[34:35]
	v_add_f64 v[0:1], v[40:41], v[0:1]
	v_add_f64 v[4:5], v[30:31], v[4:5]
	v_add_f64 v[16:17], v[18:19], v[8:9]
                                        ; implicit-def: $vgpr18_vgpr19
	v_add_f64 v[2:3], v[2:3], v[6:7]
	ds_write2_b64 v12, v[14:15], v[22:23] offset0:2 offset1:3
	ds_write2_b64 v12, v[26:27], v[28:29] offset0:4 offset1:5
	;; [unrolled: 1-line block ×4, first 2 shown]
	ds_write_b64 v12, v[16:17] offset:80
	ds_write2_b64 v12, v[2:3], v[10:11] offset1:1
	s_waitcnt lgkmcnt(0)
	s_barrier
	buffer_gl0_inv
	ds_read2_b64 v[4:7], v73 offset1:132
	ds_read2_b64 v[0:3], v13 offset0:8 offset1:228
	ds_read2_b64 v[8:11], v75 offset0:72 offset1:204
	ds_read2_b64 v[12:15], v74 offset0:104 offset1:236
	ds_read_b64 v[22:23], v73 offset:9856
	s_and_saveexec_b32 s1, s0
	s_cbranch_execz .LBB0_17
; %bb.16:
	ds_read_b64 v[20:21], v73 offset:3168
	ds_read_b64 v[16:17], v73 offset:7040
	;; [unrolled: 1-line block ×3, first 2 shown]
.LBB0_17:
	s_or_b32 exec_lo, exec_lo, s1
	v_and_b32_e32 v77, 0xff, v72
	v_add_nc_u32_e32 v75, 0x84, v72
	v_mov_b32_e32 v26, 0xba2f
	v_add_nc_u32_e32 v74, 0x108, v72
	v_add_nc_u32_e32 v28, 0x18c, v72
	v_mul_lo_u16 v24, 0x75, v77
	v_mov_b32_e32 v32, 5
	v_mul_u32_u24_sdwa v27, v75, v26 dst_sel:DWORD dst_unused:UNUSED_PAD src0_sel:WORD_0 src1_sel:DWORD
	s_mov_b32 s4, 0xe8584caa
	s_mov_b32 s5, 0x3febb67a
	v_lshrrev_b16 v24, 8, v24
	s_mov_b32 s7, 0xbfebb67a
	v_lshrrev_b32_e32 v76, 19, v27
	s_mov_b32 s6, s4
	v_sub_nc_u16 v25, v72, v24
	v_lshrrev_b16 v25, 1, v25
	v_and_b32_e32 v25, 0x7f, v25
	v_add_nc_u16 v24, v25, v24
	v_mul_u32_u24_sdwa v25, v74, v26 dst_sel:DWORD dst_unused:UNUSED_PAD src0_sel:WORD_0 src1_sel:DWORD
	v_mul_u32_u24_sdwa v26, v28, v26 dst_sel:DWORD dst_unused:UNUSED_PAD src0_sel:WORD_0 src1_sel:DWORD
	v_lshrrev_b16 v109, 3, v24
	v_mul_lo_u16 v24, v76, 11
	v_lshrrev_b32_e32 v110, 19, v25
	v_lshrrev_b32_e32 v111, 19, v26
	v_mul_lo_u16 v25, v109, 11
	v_sub_nc_u16 v112, v75, v24
	v_mul_lo_u16 v24, v110, 11
	v_mul_lo_u16 v26, v111, 11
	v_sub_nc_u16 v113, v72, v25
	v_lshlrev_b32_sdwa v29, v32, v112 dst_sel:DWORD dst_unused:UNUSED_PAD src0_sel:DWORD src1_sel:WORD_0
	v_sub_nc_u16 v114, v74, v24
	v_sub_nc_u16 v78, v28, v26
	s_clause 0x1
	global_load_dwordx4 v[24:27], v29, s[8:9]
	global_load_dwordx4 v[28:31], v29, s[8:9] offset:16
	v_lshlrev_b32_sdwa v33, v32, v113 dst_sel:DWORD dst_unused:UNUSED_PAD src0_sel:DWORD src1_sel:BYTE_0
	v_lshlrev_b32_sdwa v38, v32, v114 dst_sel:DWORD dst_unused:UNUSED_PAD src0_sel:DWORD src1_sel:WORD_0
	v_lshlrev_b32_sdwa v32, v32, v78 dst_sel:DWORD dst_unused:UNUSED_PAD src0_sel:DWORD src1_sel:WORD_0
	s_clause 0x5
	global_load_dwordx4 v[34:37], v33, s[8:9]
	global_load_dwordx4 v[79:82], v33, s[8:9] offset:16
	global_load_dwordx4 v[83:86], v38, s[8:9]
	global_load_dwordx4 v[87:90], v38, s[8:9] offset:16
	;; [unrolled: 2-line block ×3, first 2 shown]
	s_waitcnt vmcnt(0) lgkmcnt(0)
	s_barrier
	buffer_gl0_inv
	v_mul_f64 v[32:33], v[12:13], v[26:27]
	v_mul_f64 v[38:39], v[10:11], v[30:31]
	;; [unrolled: 1-line block ×15, first 2 shown]
	v_fma_f64 v[26:27], v[52:53], v[24:25], -v[32:33]
	v_fma_f64 v[32:33], v[58:59], v[28:29], -v[38:39]
	v_mul_f64 v[58:59], v[50:51], v[36:37]
	v_fma_f64 v[50:51], v[50:51], v[34:35], -v[40:41]
	v_fma_f64 v[52:53], v[56:57], v[79:80], -v[42:43]
	;; [unrolled: 1-line block ×6, first 2 shown]
	v_fma_f64 v[12:13], v[12:13], v[24:25], v[107:108]
	v_fma_f64 v[24:25], v[10:11], v[28:29], v[30:31]
	;; [unrolled: 1-line block ×7, first 2 shown]
	v_add_f64 v[22:23], v[46:47], v[26:27]
	v_add_f64 v[14:15], v[26:27], v[32:33]
	v_fma_f64 v[2:3], v[2:3], v[34:35], v[58:59]
	v_add_f64 v[66:67], v[44:45], v[50:51]
	v_add_f64 v[8:9], v[50:51], v[52:53]
	;; [unrolled: 1-line block ×5, first 2 shown]
	v_add_f64 v[34:35], v[12:13], -v[24:25]
	v_add_f64 v[70:71], v[10:11], -v[56:57]
	v_fma_f64 v[46:47], v[14:15], -0.5, v[46:47]
	v_add_f64 v[68:69], v[2:3], -v[54:55]
	v_add_f64 v[14:15], v[28:29], -v[30:31]
	v_fma_f64 v[44:45], v[8:9], -0.5, v[44:45]
	v_add_f64 v[66:67], v[66:67], v[52:53]
	v_fma_f64 v[8:9], v[18:19], -0.5, v[64:65]
	v_fma_f64 v[48:49], v[16:17], -0.5, v[48:49]
	v_add_f64 v[17:18], v[22:23], v[32:33]
	v_add_f64 v[22:23], v[58:59], v[42:43]
	v_mov_b32_e32 v16, 3
	v_mov_b32_e32 v19, 0x108
	v_mul_u32_u24_sdwa v19, v109, v19 dst_sel:DWORD dst_unused:UNUSED_PAD src0_sel:WORD_0 src1_sel:DWORD
	v_fma_f64 v[58:59], v[34:35], s[4:5], v[46:47]
	v_fma_f64 v[81:82], v[34:35], s[6:7], v[46:47]
	v_mul_u32_u24_e32 v46, 0x108, v110
	v_fma_f64 v[79:80], v[68:69], s[4:5], v[44:45]
	v_fma_f64 v[68:69], v[68:69], s[6:7], v[44:45]
	v_mul_u32_u24_e32 v45, 0x108, v76
	v_fma_f64 v[34:35], v[14:15], s[6:7], v[8:9]
	v_fma_f64 v[83:84], v[70:71], s[4:5], v[48:49]
	;; [unrolled: 1-line block ×3, first 2 shown]
	v_lshlrev_b32_sdwa v47, v16, v112 dst_sel:DWORD dst_unused:UNUSED_PAD src0_sel:DWORD src1_sel:WORD_0
	v_lshlrev_b32_sdwa v70, v16, v113 dst_sel:DWORD dst_unused:UNUSED_PAD src0_sel:DWORD src1_sel:BYTE_0
	v_lshlrev_b32_sdwa v71, v16, v114 dst_sel:DWORD dst_unused:UNUSED_PAD src0_sel:DWORD src1_sel:WORD_0
	v_mul_lo_u16 v44, v111, 33
	v_add3_u32 v45, 0, v45, v47
	v_add3_u32 v47, 0, v19, v70
	;; [unrolled: 1-line block ×3, first 2 shown]
	ds_write2_b64 v47, v[66:67], v[79:80] offset1:11
	ds_write_b64 v47, v[68:69] offset:176
	ds_write2_b64 v45, v[17:18], v[58:59] offset1:11
	ds_write_b64 v45, v[81:82] offset:176
	ds_write2_b64 v46, v[22:23], v[83:84] offset1:11
	ds_write_b64 v46, v[48:49] offset:176
	s_and_saveexec_b32 s1, s0
	s_cbranch_execz .LBB0_19
; %bb.18:
	v_mul_f64 v[14:15], v[14:15], s[4:5]
	v_add_f64 v[17:18], v[64:65], v[36:37]
	v_add_f64 v[8:9], v[14:15], v[8:9]
	;; [unrolled: 1-line block ×3, first 2 shown]
	v_lshlrev_b32_sdwa v17, v16, v78 dst_sel:DWORD dst_unused:UNUSED_PAD src0_sel:DWORD src1_sel:WORD_0
	v_lshlrev_b32_sdwa v16, v16, v44 dst_sel:DWORD dst_unused:UNUSED_PAD src0_sel:DWORD src1_sel:WORD_0
	v_add3_u32 v16, 0, v17, v16
	ds_write2_b64 v16, v[14:15], v[8:9] offset1:11
	ds_write_b64 v16, v[34:35] offset:176
.LBB0_19:
	s_or_b32 exec_lo, exec_lo, s1
	v_add_f64 v[8:9], v[2:3], v[54:55]
	v_add_f64 v[14:15], v[12:13], v[24:25]
	;; [unrolled: 1-line block ×5, first 2 shown]
	v_add_f64 v[50:51], v[50:51], -v[52:53]
	v_add_f64 v[52:53], v[6:7], v[12:13]
	v_add_f64 v[58:59], v[0:1], v[10:11]
	v_add_f64 v[26:27], v[26:27], -v[32:33]
	v_add_f64 v[42:43], v[38:39], -v[42:43]
	v_add_nc_u32_e32 v32, 0x1000, v73
	v_add_nc_u32_e32 v33, 0x1800, v73
	v_lshl_add_u32 v38, v72, 3, 0
	v_add_nc_u32_e32 v76, 0x2000, v73
	s_waitcnt lgkmcnt(0)
	s_barrier
	buffer_gl0_inv
	ds_read_b64 v[22:23], v73 offset:2112
	v_fma_f64 v[64:65], v[8:9], -0.5, v[4:5]
	v_fma_f64 v[66:67], v[14:15], -0.5, v[6:7]
	v_add_f64 v[6:7], v[36:37], -v[40:41]
	v_fma_f64 v[4:5], v[18:19], -0.5, v[20:21]
	v_fma_f64 v[68:69], v[16:17], -0.5, v[0:1]
	v_add_f64 v[39:40], v[48:49], v[54:55]
	ds_read2_b64 v[0:3], v73 offset1:132
	ds_read2_b64 v[16:19], v32 offset0:16 offset1:148
	ds_read2_b64 v[8:11], v33 offset0:24 offset1:156
	;; [unrolled: 1-line block ×3, first 2 shown]
	v_add_f64 v[48:49], v[52:53], v[24:25]
	v_add_f64 v[52:53], v[58:59], v[56:57]
	v_fma_f64 v[54:55], v[50:51], s[6:7], v[64:65]
	v_fma_f64 v[50:51], v[50:51], s[4:5], v[64:65]
	v_fma_f64 v[56:57], v[26:27], s[6:7], v[66:67]
	v_fma_f64 v[36:37], v[6:7], s[4:5], v[4:5]
	v_fma_f64 v[58:59], v[26:27], s[4:5], v[66:67]
	ds_read_b64 v[24:25], v38 offset:3168
	ds_read_b64 v[26:27], v73 offset:10560
	v_fma_f64 v[64:65], v[42:43], s[6:7], v[68:69]
	v_fma_f64 v[41:42], v[42:43], s[4:5], v[68:69]
	s_waitcnt lgkmcnt(0)
	s_barrier
	buffer_gl0_inv
	ds_write2_b64 v47, v[39:40], v[54:55] offset1:11
	ds_write_b64 v47, v[50:51] offset:176
	ds_write2_b64 v45, v[48:49], v[56:57] offset1:11
	ds_write_b64 v45, v[58:59] offset:176
	;; [unrolled: 2-line block ×3, first 2 shown]
	s_and_saveexec_b32 s1, s0
	s_cbranch_execz .LBB0_21
; %bb.20:
	v_add_f64 v[20:21], v[20:21], v[28:29]
	v_mul_f64 v[6:7], v[6:7], s[4:5]
	v_add_f64 v[20:21], v[20:21], v[30:31]
	v_add_f64 v[4:5], v[4:5], -v[6:7]
	v_mov_b32_e32 v6, 3
	v_lshlrev_b32_sdwa v7, v6, v78 dst_sel:DWORD dst_unused:UNUSED_PAD src0_sel:DWORD src1_sel:WORD_0
	v_lshlrev_b32_sdwa v6, v6, v44 dst_sel:DWORD dst_unused:UNUSED_PAD src0_sel:DWORD src1_sel:WORD_0
	v_add3_u32 v6, 0, v7, v6
	ds_write2_b64 v6, v[20:21], v[4:5] offset1:11
	ds_write_b64 v6, v[36:37] offset:176
.LBB0_21:
	s_or_b32 exec_lo, exec_lo, s1
	v_mul_lo_u16 v4, 0xf9, v77
	v_mov_b32_e32 v5, 10
	s_waitcnt lgkmcnt(0)
	s_barrier
	buffer_gl0_inv
	v_lshrrev_b16 v77, 13, v4
	s_mov_b32 s18, 0xf8bb580b
	s_mov_b32 s22, 0x8eee2c13
	;; [unrolled: 1-line block ×4, first 2 shown]
	v_mul_lo_u16 v4, v77, 33
	s_mov_b32 s23, 0xbfed1bb4
	s_mov_b32 s13, 0xbfefac9e
	;; [unrolled: 1-line block ×4, first 2 shown]
	v_sub_nc_u16 v78, v72, v4
	s_mov_b32 s25, 0xbfe82f19
	s_mov_b32 s27, 0xbfd207e7
	;; [unrolled: 1-line block ×4, first 2 shown]
	v_mul_u32_u24_sdwa v4, v78, v5 dst_sel:DWORD dst_unused:UNUSED_PAD src0_sel:BYTE_0 src1_sel:DWORD
	s_mov_b32 s10, 0x640f44db
	s_mov_b32 s5, 0x3feaeb8c
	;; [unrolled: 1-line block ×4, first 2 shown]
	v_lshlrev_b32_e32 v4, 4, v4
	s_mov_b32 s16, 0x7f775887
	s_mov_b32 s20, 0x9bcd5057
	;; [unrolled: 1-line block ×4, first 2 shown]
	s_clause 0x9
	global_load_dwordx4 v[28:31], v4, s[8:9] offset:352
	global_load_dwordx4 v[39:42], v4, s[8:9] offset:368
	;; [unrolled: 1-line block ×10, first 2 shown]
	ds_read2_b64 v[4:7], v73 offset1:132
	ds_read_b64 v[47:48], v73 offset:2112
	ds_read2_b64 v[99:102], v32 offset0:16 offset1:148
	ds_read2_b64 v[103:106], v33 offset0:24 offset1:156
	ds_read_b64 v[32:33], v38 offset:3168
	ds_read2_b64 v[107:110], v76 offset0:32 offset1:164
	ds_read_b64 v[49:50], v73 offset:10560
	s_mov_b32 s35, 0x3fe14ced
	s_mov_b32 s30, s26
	;; [unrolled: 1-line block ×8, first 2 shown]
	s_waitcnt vmcnt(0) lgkmcnt(0)
	s_barrier
	buffer_gl0_inv
	v_cmp_gt_u32_e64 s0, 0x63, v72
	v_mul_f64 v[20:21], v[6:7], v[30:31]
	v_mul_f64 v[54:55], v[47:48], v[41:42]
	;; [unrolled: 1-line block ×15, first 2 shown]
	v_fma_f64 v[52:53], v[2:3], v[28:29], -v[20:21]
	v_mul_f64 v[2:3], v[2:3], v[30:31]
	v_mul_f64 v[20:21], v[26:27], v[68:69]
	;; [unrolled: 1-line block ×4, first 2 shown]
	v_fma_f64 v[58:59], v[22:23], v[39:40], -v[54:55]
	v_mul_f64 v[68:69], v[49:50], v[68:69]
	v_fma_f64 v[22:23], v[109:110], v[79:80], v[64:65]
	v_add_f64 v[119:120], v[0:1], v[52:53]
	v_fma_f64 v[54:55], v[6:7], v[28:29], v[2:3]
	v_fma_f64 v[20:21], v[49:50], v[66:67], v[20:21]
	;; [unrolled: 1-line block ×3, first 2 shown]
	v_fma_f64 v[64:65], v[24:25], v[43:44], -v[41:42]
	v_fma_f64 v[48:49], v[32:33], v[43:44], v[70:71]
	v_fma_f64 v[70:71], v[26:27], v[66:67], -v[68:69]
	v_fma_f64 v[50:51], v[16:17], v[56:57], -v[111:112]
	v_fma_f64 v[24:25], v[107:108], v[87:88], v[117:118]
	v_fma_f64 v[32:33], v[18:19], v[83:84], -v[115:116]
	v_fma_f64 v[28:29], v[101:102], v[83:84], v[85:86]
	v_fma_f64 v[44:45], v[8:9], v[91:92], -v[121:122]
	v_fma_f64 v[68:69], v[14:15], v[79:80], -v[81:82]
	;; [unrolled: 1-line block ×3, first 2 shown]
	v_fma_f64 v[30:31], v[99:100], v[56:57], v[113:114]
	v_fma_f64 v[18:19], v[105:106], v[95:96], v[123:124]
	v_fma_f64 v[56:57], v[10:11], v[95:96], -v[97:98]
	v_fma_f64 v[26:27], v[103:104], v[91:92], v[93:94]
	v_add_f64 v[2:3], v[119:120], v[58:59]
	v_add_f64 v[6:7], v[54:55], -v[20:21]
	v_add_f64 v[8:9], v[46:47], -v[22:23]
	v_add_f64 v[12:13], v[52:53], v[70:71]
	v_add_f64 v[10:11], v[48:49], -v[24:25]
	v_add_f64 v[42:43], v[32:33], v[44:45]
	v_add_f64 v[16:17], v[58:59], v[68:69]
	;; [unrolled: 1-line block ×3, first 2 shown]
	v_add_f64 v[14:15], v[30:31], -v[18:19]
	v_add_f64 v[40:41], v[50:51], v[56:57]
	v_add_f64 v[79:80], v[28:29], -v[26:27]
	v_add_f64 v[2:3], v[2:3], v[64:65]
	v_mul_f64 v[81:82], v[6:7], s[18:19]
	v_mul_f64 v[83:84], v[6:7], s[22:23]
	;; [unrolled: 1-line block ×20, first 2 shown]
	v_add_f64 v[2:3], v[2:3], v[50:51]
	v_mul_f64 v[113:114], v[79:80], s[26:27]
	v_fma_f64 v[117:118], v[12:13], s[4:5], -v[81:82]
	v_fma_f64 v[119:120], v[12:13], s[6:7], -v[83:84]
	v_fma_f64 v[83:84], v[12:13], s[6:7], v[83:84]
	v_fma_f64 v[121:122], v[12:13], s[10:11], -v[85:86]
	v_fma_f64 v[123:124], v[12:13], s[16:17], -v[87:88]
	v_fma_f64 v[87:88], v[12:13], s[16:17], v[87:88]
	v_fma_f64 v[125:126], v[12:13], s[20:21], -v[6:7]
	v_fma_f64 v[6:7], v[12:13], s[20:21], v[6:7]
	v_fma_f64 v[85:86], v[12:13], s[10:11], v[85:86]
	v_fma_f64 v[12:13], v[12:13], s[4:5], v[81:82]
	v_fma_f64 v[127:128], v[16:17], s[6:7], -v[89:90]
	v_fma_f64 v[89:90], v[16:17], s[6:7], v[89:90]
	v_fma_f64 v[129:130], v[16:17], s[16:17], -v[91:92]
	v_fma_f64 v[91:92], v[16:17], s[16:17], v[91:92]
	;; [unrolled: 2-line block ×5, first 2 shown]
	v_add_f64 v[2:3], v[2:3], v[32:33]
	v_fma_f64 v[137:138], v[38:39], s[20:21], -v[99:100]
	v_add_f64 v[16:17], v[0:1], v[117:118]
	v_add_f64 v[117:118], v[0:1], v[119:120]
	;; [unrolled: 1-line block ×10, first 2 shown]
	v_fma_f64 v[125:126], v[38:39], s[10:11], -v[97:98]
	v_fma_f64 v[97:98], v[38:39], s[10:11], v[97:98]
	v_fma_f64 v[99:100], v[38:39], s[20:21], v[99:100]
	v_fma_f64 v[139:140], v[38:39], s[6:7], -v[101:102]
	v_fma_f64 v[101:102], v[38:39], s[6:7], v[101:102]
	v_fma_f64 v[141:142], v[38:39], s[4:5], -v[103:104]
	;; [unrolled: 2-line block ×3, first 2 shown]
	v_fma_f64 v[10:11], v[38:39], s[16:17], v[10:11]
	v_mul_f64 v[115:116], v[79:80], s[34:35]
	v_add_f64 v[2:3], v[2:3], v[44:45]
	v_mul_f64 v[81:82], v[79:80], s[24:25]
	v_add_f64 v[16:17], v[127:128], v[16:17]
	v_add_f64 v[38:39], v[129:130], v[117:118]
	;; [unrolled: 1-line block ×10, first 2 shown]
	v_mul_f64 v[12:13], v[79:80], s[28:29]
	v_mul_f64 v[79:80], v[79:80], s[12:13]
	v_fma_f64 v[85:86], v[40:41], s[16:17], -v[105:106]
	v_fma_f64 v[89:90], v[40:41], s[16:17], v[105:106]
	v_fma_f64 v[93:94], v[40:41], s[10:11], -v[107:108]
	v_fma_f64 v[105:106], v[40:41], s[10:11], v[107:108]
	;; [unrolled: 2-line block ×4, first 2 shown]
	v_add_f64 v[2:3], v[2:3], v[56:57]
	v_fma_f64 v[121:122], v[40:41], s[6:7], -v[14:15]
	v_fma_f64 v[14:15], v[40:41], s[6:7], v[14:15]
	v_add_f64 v[16:17], v[125:126], v[16:17]
	v_add_f64 v[38:39], v[137:138], v[38:39]
	;; [unrolled: 1-line block ×10, first 2 shown]
	v_fma_f64 v[10:11], v[42:43], s[20:21], -v[113:114]
	v_fma_f64 v[97:98], v[42:43], s[20:21], v[113:114]
	v_fma_f64 v[99:100], v[42:43], s[4:5], -v[115:116]
	v_fma_f64 v[101:102], v[42:43], s[4:5], v[115:116]
	;; [unrolled: 2-line block ×4, first 2 shown]
	v_fma_f64 v[115:116], v[42:43], s[10:11], -v[79:80]
	v_add_f64 v[2:3], v[2:3], v[66:67]
	v_fma_f64 v[42:43], v[42:43], s[10:11], v[79:80]
	v_add_f64 v[16:17], v[85:86], v[16:17]
	v_add_f64 v[38:39], v[93:94], v[38:39]
	;; [unrolled: 1-line block ×10, first 2 shown]
	v_mov_b32_e32 v89, 0xb58
	v_mov_b32_e32 v90, 3
	v_add_f64 v[2:3], v[2:3], v[68:69]
	v_add_f64 v[10:11], v[10:11], v[16:17]
	;; [unrolled: 1-line block ×11, first 2 shown]
	v_add_nc_u32_e32 v79, 0x1400, v73
	v_add_f64 v[0:1], v[2:3], v[70:71]
	v_mul_u32_u24_sdwa v2, v77, v89 dst_sel:DWORD dst_unused:UNUSED_PAD src0_sel:WORD_0 src1_sel:DWORD
	v_lshlrev_b32_sdwa v3, v90, v78 dst_sel:DWORD dst_unused:UNUSED_PAD src0_sel:DWORD src1_sel:BYTE_0
	v_add_nc_u32_e32 v78, 0x800, v73
	v_add3_u32 v77, 0, v2, v3
	v_add_nc_u32_e32 v80, 0x800, v77
	ds_write2_b64 v77, v[14:15], v[16:17] offset0:66 offset1:99
	ds_write2_b64 v77, v[83:84], v[85:86] offset0:132 offset1:165
	;; [unrolled: 1-line block ×4, first 2 shown]
	ds_write_b64 v77, v[42:43] offset:2640
	ds_write2_b64 v77, v[0:1], v[10:11] offset1:33
	s_waitcnt lgkmcnt(0)
	s_barrier
	buffer_gl0_inv
	ds_read2_b64 v[0:3], v73 offset1:132
	ds_read2_b64 v[14:17], v78 offset0:107 offset1:239
	ds_read2_b64 v[10:13], v79 offset0:86 offset1:218
	;; [unrolled: 1-line block ×3, first 2 shown]
	s_and_saveexec_b32 s1, s0
	s_cbranch_execz .LBB0_23
; %bb.22:
	ds_read_b64 v[38:39], v73 offset:2112
	ds_read_b64 v[40:41], v73 offset:5016
	;; [unrolled: 1-line block ×4, first 2 shown]
.LBB0_23:
	s_or_b32 exec_lo, exec_lo, s1
	v_add_f64 v[81:82], v[4:5], v[54:55]
	v_add_f64 v[52:53], v[52:53], -v[70:71]
	v_add_f64 v[64:65], v[64:65], -v[66:67]
	v_add_f64 v[58:59], v[58:59], -v[68:69]
	v_add_f64 v[54:55], v[54:55], v[20:21]
	v_add_f64 v[32:33], v[32:33], -v[44:45]
	v_add_f64 v[50:51], v[50:51], -v[56:57]
	v_add_f64 v[56:57], v[30:31], v[18:19]
	v_add_f64 v[68:69], v[28:29], v[26:27]
	s_waitcnt lgkmcnt(0)
	s_barrier
	buffer_gl0_inv
	v_add_f64 v[81:82], v[81:82], v[46:47]
	v_mul_f64 v[44:45], v[52:53], s[18:19]
	v_mul_f64 v[70:71], v[52:53], s[22:23]
	;; [unrolled: 1-line block ×3, first 2 shown]
	v_add_f64 v[46:47], v[46:47], v[22:23]
	v_mul_f64 v[85:86], v[58:59], s[22:23]
	v_mul_f64 v[87:88], v[58:59], s[24:25]
	;; [unrolled: 1-line block ×15, first 2 shown]
	v_add_f64 v[66:67], v[81:82], v[48:49]
	v_mul_f64 v[81:82], v[52:53], s[12:13]
	v_mul_f64 v[52:53], v[52:53], s[26:27]
	v_fma_f64 v[111:112], v[54:55], s[4:5], v[44:45]
	v_fma_f64 v[113:114], v[54:55], s[6:7], v[70:71]
	v_fma_f64 v[70:71], v[54:55], s[6:7], -v[70:71]
	v_fma_f64 v[117:118], v[54:55], s[16:17], v[83:84]
	v_fma_f64 v[83:84], v[54:55], s[16:17], -v[83:84]
	v_fma_f64 v[44:45], v[54:55], s[4:5], -v[44:45]
	v_add_f64 v[48:49], v[48:49], v[24:25]
	v_fma_f64 v[121:122], v[46:47], s[16:17], v[87:88]
	v_fma_f64 v[87:88], v[46:47], s[16:17], -v[87:88]
	v_fma_f64 v[123:124], v[46:47], s[20:21], v[89:90]
	v_fma_f64 v[89:90], v[46:47], s[20:21], -v[89:90]
	;; [unrolled: 2-line block ×3, first 2 shown]
	v_fma_f64 v[127:128], v[46:47], s[4:5], v[58:59]
	v_add_f64 v[30:31], v[66:67], v[30:31]
	v_fma_f64 v[115:116], v[54:55], s[10:11], v[81:82]
	v_fma_f64 v[119:120], v[54:55], s[20:21], v[52:53]
	v_fma_f64 v[52:53], v[54:55], s[20:21], -v[52:53]
	v_fma_f64 v[81:82], v[54:55], s[10:11], -v[81:82]
	v_mul_f64 v[66:67], v[64:65], s[30:31]
	v_mul_f64 v[64:65], v[64:65], s[24:25]
	v_fma_f64 v[54:55], v[46:47], s[6:7], v[85:86]
	v_fma_f64 v[85:86], v[46:47], s[6:7], -v[85:86]
	v_fma_f64 v[46:47], v[46:47], s[4:5], -v[58:59]
	v_add_f64 v[58:59], v[4:5], v[111:112]
	v_add_f64 v[111:112], v[4:5], v[113:114]
	;; [unrolled: 1-line block ×4, first 2 shown]
	v_fma_f64 v[129:130], v[48:49], s[6:7], v[95:96]
	v_fma_f64 v[95:96], v[48:49], s[6:7], -v[95:96]
	v_fma_f64 v[131:132], v[48:49], s[4:5], v[97:98]
	v_fma_f64 v[97:98], v[48:49], s[4:5], -v[97:98]
	v_add_f64 v[28:29], v[30:31], v[28:29]
	v_add_f64 v[113:114], v[4:5], v[115:116]
	;; [unrolled: 1-line block ×7, first 2 shown]
	v_fma_f64 v[44:45], v[48:49], s[10:11], v[93:94]
	v_fma_f64 v[93:94], v[48:49], s[10:11], -v[93:94]
	v_fma_f64 v[119:120], v[48:49], s[20:21], v[66:67]
	v_fma_f64 v[66:67], v[48:49], s[20:21], -v[66:67]
	;; [unrolled: 2-line block ×3, first 2 shown]
	v_add_f64 v[54:55], v[54:55], v[58:59]
	v_add_f64 v[58:59], v[121:122], v[111:112]
	;; [unrolled: 1-line block ×4, first 2 shown]
	v_mul_f64 v[30:31], v[32:33], s[24:25]
	v_fma_f64 v[111:112], v[56:57], s[6:7], v[50:51]
	v_fma_f64 v[50:51], v[56:57], s[6:7], -v[50:51]
	v_add_f64 v[26:27], v[28:29], v[26:27]
	v_add_f64 v[70:71], v[123:124], v[113:114]
	;; [unrolled: 1-line block ×7, first 2 shown]
	v_mul_f64 v[28:29], v[32:33], s[28:29]
	v_fma_f64 v[81:82], v[56:57], s[16:17], -v[99:100]
	v_fma_f64 v[85:86], v[56:57], s[10:11], v[101:102]
	v_fma_f64 v[89:90], v[56:57], s[10:11], -v[101:102]
	v_fma_f64 v[101:102], v[56:57], s[4:5], -v[103:104]
	v_add_f64 v[44:45], v[44:45], v[54:55]
	v_add_f64 v[54:55], v[119:120], v[58:59]
	;; [unrolled: 1-line block ×3, first 2 shown]
	v_mul_f64 v[26:27], v[32:33], s[12:13]
	v_fma_f64 v[32:33], v[56:57], s[16:17], v[99:100]
	v_fma_f64 v[99:100], v[56:57], s[4:5], v[103:104]
	;; [unrolled: 1-line block ×3, first 2 shown]
	v_fma_f64 v[105:106], v[56:57], s[20:21], -v[105:106]
	v_add_f64 v[56:57], v[66:67], v[64:65]
	v_add_f64 v[58:59], v[129:130], v[70:71]
	;; [unrolled: 1-line block ×8, first 2 shown]
	v_fma_f64 v[83:84], v[68:69], s[4:5], v[109:110]
	v_fma_f64 v[91:92], v[68:69], s[16:17], v[30:31]
	v_fma_f64 v[87:88], v[68:69], s[4:5], -v[109:110]
	v_fma_f64 v[93:94], v[68:69], s[6:7], v[28:29]
	v_fma_f64 v[28:29], v[68:69], s[6:7], -v[28:29]
	v_fma_f64 v[30:31], v[68:69], s[16:17], -v[30:31]
	;; [unrolled: 1-line block ×3, first 2 shown]
	v_add_f64 v[18:19], v[18:19], v[24:25]
	v_fma_f64 v[24:25], v[68:69], s[20:21], v[107:108]
	v_add_f64 v[32:33], v[32:33], v[44:45]
	v_add_f64 v[44:45], v[85:86], v[54:55]
	v_fma_f64 v[95:96], v[68:69], s[10:11], v[26:27]
	v_fma_f64 v[26:27], v[68:69], s[10:11], -v[26:27]
	v_add_f64 v[54:55], v[89:90], v[56:57]
	v_add_f64 v[56:57], v[99:100], v[58:59]
	;; [unrolled: 1-line block ×19, first 2 shown]
	v_add_nc_u32_e32 v48, 0x2000, v73
	v_add_f64 v[18:19], v[18:19], v[20:21]
	ds_write2_b64 v77, v[24:25], v[32:33] offset0:66 offset1:99
	ds_write2_b64 v77, v[54:55], v[56:57] offset0:132 offset1:165
	;; [unrolled: 1-line block ×4, first 2 shown]
	ds_write_b64 v77, v[46:47] offset:2640
	ds_write2_b64 v77, v[18:19], v[22:23] offset1:33
	s_waitcnt lgkmcnt(0)
	s_barrier
	buffer_gl0_inv
	ds_read2_b64 v[18:21], v73 offset1:132
	ds_read2_b64 v[22:25], v78 offset0:107 offset1:239
	ds_read2_b64 v[30:33], v79 offset0:86 offset1:218
	;; [unrolled: 1-line block ×3, first 2 shown]
	s_and_saveexec_b32 s1, s0
	s_cbranch_execz .LBB0_25
; %bb.24:
	ds_read_b64 v[4:5], v73 offset:2112
	ds_read_b64 v[44:45], v73 offset:5016
	;; [unrolled: 1-line block ×4, first 2 shown]
.LBB0_25:
	s_or_b32 exec_lo, exec_lo, s1
	s_and_saveexec_b32 s1, vcc_lo
	s_cbranch_execz .LBB0_28
; %bb.26:
	v_mul_u32_u24_e32 v48, 3, v75
	v_mul_u32_u24_e32 v49, 3, v72
	v_mul_hi_u32 v73, 0x691473a9, v72
	v_add_nc_u32_e32 v91, 0x84, v72
	v_mul_lo_u32 v92, s3, v62
	v_lshlrev_b32_e32 v48, 4, v48
	v_lshlrev_b32_e32 v49, 4, v49
	v_mul_hi_u32 v93, 0x691473a9, v91
	v_sub_nc_u32_e32 v94, v72, v73
	v_add_co_u32 v48, s1, s8, v48
	v_add_co_ci_u32_e64 v50, null, s9, 0, s1
	v_add_co_u32 v54, s1, s8, v49
	v_add_co_u32 v56, vcc_lo, 0x1600, v48
	v_add_co_ci_u32_e32 v57, vcc_lo, 0, v50, vcc_lo
	v_add_co_ci_u32_e64 v55, null, s9, 0, s1
	v_add_co_u32 v52, vcc_lo, 0x1000, v48
	v_add_co_ci_u32_e32 v53, vcc_lo, 0, v50, vcc_lo
	v_add_co_u32 v75, vcc_lo, 0x1600, v54
	v_add_co_ci_u32_e32 v76, vcc_lo, 0, v55, vcc_lo
	;; [unrolled: 2-line block ×3, first 2 shown]
	s_clause 0x5
	global_load_dwordx4 v[48:51], v[56:57], off offset:16
	global_load_dwordx4 v[52:55], v[52:53], off offset:1536
	;; [unrolled: 1-line block ×6, first 2 shown]
	s_waitcnt vmcnt(4) lgkmcnt(2)
	v_mul_f64 v[81:82], v[24:25], v[54:55]
	v_mul_f64 v[54:55], v[16:17], v[54:55]
	s_waitcnt vmcnt(3)
	v_mul_f64 v[83:84], v[8:9], v[58:59]
	v_mul_f64 v[79:80], v[12:13], v[50:51]
	s_waitcnt lgkmcnt(1)
	v_mul_f64 v[50:51], v[32:33], v[50:51]
	s_waitcnt vmcnt(2)
	v_mul_f64 v[85:86], v[10:11], v[66:67]
	s_waitcnt vmcnt(1)
	v_mul_f64 v[87:88], v[22:23], v[70:71]
	v_mul_f64 v[70:71], v[14:15], v[70:71]
	s_waitcnt vmcnt(0)
	v_mul_f64 v[89:90], v[6:7], v[77:78]
	v_mul_f64 v[66:67], v[30:31], v[66:67]
	s_waitcnt lgkmcnt(0)
	v_mul_f64 v[77:78], v[26:27], v[77:78]
	v_mul_f64 v[58:59], v[28:29], v[58:59]
	v_fma_f64 v[16:17], v[16:17], v[52:53], -v[81:82]
	v_fma_f64 v[24:25], v[24:25], v[52:53], v[54:55]
	v_fma_f64 v[28:29], v[28:29], v[56:57], v[83:84]
	;; [unrolled: 1-line block ×3, first 2 shown]
	v_fma_f64 v[12:13], v[12:13], v[48:49], -v[50:51]
	v_fma_f64 v[30:31], v[30:31], v[64:65], v[85:86]
	v_fma_f64 v[14:15], v[14:15], v[68:69], -v[87:88]
	v_fma_f64 v[22:23], v[22:23], v[68:69], v[70:71]
	v_fma_f64 v[26:27], v[26:27], v[75:76], v[89:90]
	v_fma_f64 v[10:11], v[10:11], v[64:65], -v[66:67]
	v_fma_f64 v[48:49], v[6:7], v[75:76], -v[77:78]
	;; [unrolled: 1-line block ×3, first 2 shown]
	v_lshrrev_b32_e32 v8, 1, v94
	v_mul_lo_u32 v6, s2, v63
	v_mad_u64_u32 v[52:53], null, s2, v62, 0
	v_sub_nc_u32_e32 v9, v91, v93
	v_add_nc_u32_e32 v56, v8, v73
	v_lshlrev_b64 v[54:55], 4, v[60:61]
	v_mov_b32_e32 v7, 0
	v_add_nc_u32_e32 v8, 0x108, v72
	v_add3_u32 v53, v53, v6, v92
	v_lshrrev_b32_e32 v6, 1, v9
	v_add_f64 v[28:29], v[24:25], -v[28:29]
	v_add_f64 v[32:33], v[20:21], -v[32:33]
	v_lshrrev_b32_e32 v60, 8, v56
	v_add_f64 v[30:31], v[18:19], -v[30:31]
	v_add_f64 v[56:57], v[2:3], -v[12:13]
	v_add_nc_u32_e32 v6, v6, v93
	v_add_f64 v[26:27], v[22:23], -v[26:27]
	v_add_f64 v[58:59], v[0:1], -v[10:11]
	v_add_f64 v[48:49], v[14:15], -v[48:49]
	v_add_f64 v[9:10], v[16:17], -v[50:51]
	v_mul_u32_u24_e32 v13, 0x16b, v60
	v_lshlrev_b64 v[11:12], 4, v[52:53]
	v_lshrrev_b32_e32 v6, 8, v6
	v_mov_b32_e32 v52, v7
	v_mov_b32_e32 v50, v7
	v_sub_nc_u32_e32 v13, v72, v13
	v_cmp_gt_u32_e32 vcc_lo, 0x16b, v8
	v_add_co_u32 v11, s1, s14, v11
	v_mul_u32_u24_e32 v51, 0x16b, v6
	v_add_co_ci_u32_e64 v12, s1, s15, v12, s1
	v_lshlrev_b32_e32 v13, 4, v13
	v_fma_f64 v[60:61], v[20:21], 2.0, -v[32:33]
	v_fma_f64 v[20:21], v[24:25], 2.0, -v[28:29]
	;; [unrolled: 1-line block ×8, first 2 shown]
	v_add_co_u32 v0, s1, v11, v54
	v_sub_nc_u32_e32 v11, v91, v51
	v_add_co_ci_u32_e64 v1, s1, v12, v55, s1
	v_add_co_u32 v68, s1, v0, v13
	v_mad_u32_u24 v6, 0x5ac, v6, v11
	v_add_f64 v[11:12], v[32:33], v[9:10]
	v_add_f64 v[15:16], v[30:31], v[48:49]
	v_add_f64 v[13:14], v[58:59], -v[26:27]
	v_add_f64 v[9:10], v[56:57], -v[28:29]
	v_add_nc_u32_e32 v51, 0x2d6, v6
	v_add_co_ci_u32_e64 v69, s1, 0, v1, s1
	v_add_f64 v[19:20], v[60:61], -v[20:21]
	v_add_nc_u32_e32 v49, 0x16b, v6
	v_add_co_u32 v70, s1, 0x1000, v68
	v_add_f64 v[23:24], v[62:63], -v[22:23]
	v_add_f64 v[21:22], v[64:65], -v[66:67]
	;; [unrolled: 1-line block ×3, first 2 shown]
	v_lshlrev_b64 v[81:82], 4, v[51:52]
	v_add_co_ci_u32_e64 v71, s1, 0, v69, s1
	v_lshlrev_b64 v[79:80], 4, v[49:50]
	v_add_co_u32 v66, s1, 0x2800, v68
	v_lshlrev_b64 v[75:76], 4, v[6:7]
	v_add_co_ci_u32_e64 v67, s1, 0, v69, s1
	v_fma_f64 v[27:28], v[32:33], 2.0, -v[11:12]
	v_fma_f64 v[31:32], v[30:31], 2.0, -v[15:16]
	;; [unrolled: 1-line block ×4, first 2 shown]
	v_add_co_u32 v77, s1, 0x4000, v68
	v_fma_f64 v[50:51], v[60:61], 2.0, -v[19:20]
	v_add_nc_u32_e32 v6, 0x441, v6
	v_add_co_ci_u32_e64 v78, s1, 0, v69, s1
	v_fma_f64 v[54:55], v[62:63], 2.0, -v[23:24]
	v_fma_f64 v[52:53], v[64:65], 2.0, -v[21:22]
	;; [unrolled: 1-line block ×3, first 2 shown]
	v_add_co_u32 v2, s1, v0, v75
	v_add_co_ci_u32_e64 v3, s1, v1, v76, s1
	v_lshlrev_b64 v[83:84], 4, v[6:7]
	v_add_co_u32 v56, s1, v0, v79
	v_add_co_ci_u32_e64 v57, s1, v1, v80, s1
	v_add_co_u32 v58, s1, v0, v81
	v_add_co_ci_u32_e64 v59, s1, v1, v82, s1
	;; [unrolled: 2-line block ×3, first 2 shown]
	global_store_dwordx4 v[77:78], v[13:16], off offset:1040
	global_store_dwordx4 v[70:71], v[29:32], off offset:1712
	;; [unrolled: 1-line block ×3, first 2 shown]
	global_store_dwordx4 v[68:69], v[52:55], off
	global_store_dwordx4 v[2:3], v[48:51], off
	;; [unrolled: 1-line block ×5, first 2 shown]
	s_and_b32 exec_lo, exec_lo, vcc_lo
	s_cbranch_execz .LBB0_28
; %bb.27:
	v_add_nc_u32_e32 v2, 0xffffff9d, v72
	v_cndmask_b32_e64 v2, v2, v74, s0
	v_mul_i32_i24_e32 v6, 3, v2
	v_lshlrev_b64 v[2:3], 4, v[6:7]
	v_add_co_u32 v6, vcc_lo, s8, v2
	v_add_co_ci_u32_e32 v9, vcc_lo, s9, v3, vcc_lo
	v_add_co_u32 v2, vcc_lo, 0x1000, v6
	v_add_co_ci_u32_e32 v3, vcc_lo, 0, v9, vcc_lo
	;; [unrolled: 2-line block ×3, first 2 shown]
	v_add_nc_u32_e32 v6, 0x273, v72
	s_clause 0x2
	global_load_dwordx4 v[9:12], v[2:3], off offset:1536
	global_load_dwordx4 v[13:16], v[17:18], off offset:16
	;; [unrolled: 1-line block ×3, first 2 shown]
	v_lshlrev_b64 v[27:28], 4, v[6:7]
	v_add_nc_u32_e32 v6, 0x3de, v72
	s_waitcnt vmcnt(2)
	v_mul_f64 v[2:3], v[44:45], v[11:12]
	v_mul_f64 v[11:12], v[40:41], v[11:12]
	s_waitcnt vmcnt(1)
	v_mul_f64 v[21:22], v[46:47], v[15:16]
	v_mul_f64 v[15:16], v[42:43], v[15:16]
	;; [unrolled: 3-line block ×3, first 2 shown]
	v_fma_f64 v[2:3], v[40:41], v[9:10], -v[2:3]
	v_fma_f64 v[9:10], v[44:45], v[9:10], v[11:12]
	v_fma_f64 v[11:12], v[42:43], v[13:14], -v[21:22]
	v_fma_f64 v[13:14], v[46:47], v[13:14], v[15:16]
	;; [unrolled: 2-line block ×3, first 2 shown]
	v_add_f64 v[19:20], v[38:39], -v[11:12]
	v_add_f64 v[21:22], v[4:5], -v[13:14]
	;; [unrolled: 1-line block ×4, first 2 shown]
	v_fma_f64 v[23:24], v[38:39], 2.0, -v[19:20]
	v_fma_f64 v[25:26], v[4:5], 2.0, -v[21:22]
	;; [unrolled: 1-line block ×4, first 2 shown]
	v_add_f64 v[2:3], v[19:20], -v[13:14]
	v_add_f64 v[4:5], v[21:22], v[11:12]
	v_mov_b32_e32 v9, v7
	v_lshlrev_b64 v[8:9], 4, v[8:9]
	v_add_co_u32 v8, vcc_lo, v0, v8
	v_add_co_ci_u32_e32 v9, vcc_lo, v1, v9, vcc_lo
	v_add_f64 v[10:11], v[23:24], -v[15:16]
	v_add_f64 v[12:13], v[25:26], -v[17:18]
	v_fma_f64 v[14:15], v[19:20], 2.0, -v[2:3]
	v_fma_f64 v[16:17], v[21:22], 2.0, -v[4:5]
	;; [unrolled: 1-line block ×4, first 2 shown]
	v_lshlrev_b64 v[22:23], 4, v[6:7]
	v_add_nc_u32_e32 v6, 0x549, v72
	v_add_co_u32 v24, vcc_lo, v0, v27
	v_add_co_ci_u32_e32 v25, vcc_lo, v1, v28, vcc_lo
	v_lshlrev_b64 v[6:7], 4, v[6:7]
	v_add_co_u32 v22, vcc_lo, v0, v22
	v_add_co_ci_u32_e32 v23, vcc_lo, v1, v23, vcc_lo
	v_add_co_u32 v0, vcc_lo, v0, v6
	v_add_co_ci_u32_e32 v1, vcc_lo, v1, v7, vcc_lo
	global_store_dwordx4 v[24:25], v[14:17], off
	global_store_dwordx4 v[22:23], v[10:13], off
	;; [unrolled: 1-line block ×4, first 2 shown]
.LBB0_28:
	s_endpgm
	.section	.rodata,"a",@progbits
	.p2align	6, 0x0
	.amdhsa_kernel fft_rtc_fwd_len1452_factors_11_3_11_4_wgs_132_tpt_132_halfLds_dp_op_CI_CI_unitstride_sbrr_dirReg
		.amdhsa_group_segment_fixed_size 0
		.amdhsa_private_segment_fixed_size 0
		.amdhsa_kernarg_size 104
		.amdhsa_user_sgpr_count 6
		.amdhsa_user_sgpr_private_segment_buffer 1
		.amdhsa_user_sgpr_dispatch_ptr 0
		.amdhsa_user_sgpr_queue_ptr 0
		.amdhsa_user_sgpr_kernarg_segment_ptr 1
		.amdhsa_user_sgpr_dispatch_id 0
		.amdhsa_user_sgpr_flat_scratch_init 0
		.amdhsa_user_sgpr_private_segment_size 0
		.amdhsa_wavefront_size32 1
		.amdhsa_uses_dynamic_stack 0
		.amdhsa_system_sgpr_private_segment_wavefront_offset 0
		.amdhsa_system_sgpr_workgroup_id_x 1
		.amdhsa_system_sgpr_workgroup_id_y 0
		.amdhsa_system_sgpr_workgroup_id_z 0
		.amdhsa_system_sgpr_workgroup_info 0
		.amdhsa_system_vgpr_workitem_id 0
		.amdhsa_next_free_vgpr 145
		.amdhsa_next_free_sgpr 38
		.amdhsa_reserve_vcc 1
		.amdhsa_reserve_flat_scratch 0
		.amdhsa_float_round_mode_32 0
		.amdhsa_float_round_mode_16_64 0
		.amdhsa_float_denorm_mode_32 3
		.amdhsa_float_denorm_mode_16_64 3
		.amdhsa_dx10_clamp 1
		.amdhsa_ieee_mode 1
		.amdhsa_fp16_overflow 0
		.amdhsa_workgroup_processor_mode 1
		.amdhsa_memory_ordered 1
		.amdhsa_forward_progress 0
		.amdhsa_shared_vgpr_count 0
		.amdhsa_exception_fp_ieee_invalid_op 0
		.amdhsa_exception_fp_denorm_src 0
		.amdhsa_exception_fp_ieee_div_zero 0
		.amdhsa_exception_fp_ieee_overflow 0
		.amdhsa_exception_fp_ieee_underflow 0
		.amdhsa_exception_fp_ieee_inexact 0
		.amdhsa_exception_int_div_zero 0
	.end_amdhsa_kernel
	.text
.Lfunc_end0:
	.size	fft_rtc_fwd_len1452_factors_11_3_11_4_wgs_132_tpt_132_halfLds_dp_op_CI_CI_unitstride_sbrr_dirReg, .Lfunc_end0-fft_rtc_fwd_len1452_factors_11_3_11_4_wgs_132_tpt_132_halfLds_dp_op_CI_CI_unitstride_sbrr_dirReg
                                        ; -- End function
	.section	.AMDGPU.csdata,"",@progbits
; Kernel info:
; codeLenInByte = 11080
; NumSgprs: 40
; NumVgprs: 145
; ScratchSize: 0
; MemoryBound: 1
; FloatMode: 240
; IeeeMode: 1
; LDSByteSize: 0 bytes/workgroup (compile time only)
; SGPRBlocks: 4
; VGPRBlocks: 18
; NumSGPRsForWavesPerEU: 40
; NumVGPRsForWavesPerEU: 145
; Occupancy: 6
; WaveLimiterHint : 1
; COMPUTE_PGM_RSRC2:SCRATCH_EN: 0
; COMPUTE_PGM_RSRC2:USER_SGPR: 6
; COMPUTE_PGM_RSRC2:TRAP_HANDLER: 0
; COMPUTE_PGM_RSRC2:TGID_X_EN: 1
; COMPUTE_PGM_RSRC2:TGID_Y_EN: 0
; COMPUTE_PGM_RSRC2:TGID_Z_EN: 0
; COMPUTE_PGM_RSRC2:TIDIG_COMP_CNT: 0
	.text
	.p2alignl 6, 3214868480
	.fill 48, 4, 3214868480
	.type	__hip_cuid_edaac25fe5c9ab52,@object ; @__hip_cuid_edaac25fe5c9ab52
	.section	.bss,"aw",@nobits
	.globl	__hip_cuid_edaac25fe5c9ab52
__hip_cuid_edaac25fe5c9ab52:
	.byte	0                               ; 0x0
	.size	__hip_cuid_edaac25fe5c9ab52, 1

	.ident	"AMD clang version 19.0.0git (https://github.com/RadeonOpenCompute/llvm-project roc-6.4.0 25133 c7fe45cf4b819c5991fe208aaa96edf142730f1d)"
	.section	".note.GNU-stack","",@progbits
	.addrsig
	.addrsig_sym __hip_cuid_edaac25fe5c9ab52
	.amdgpu_metadata
---
amdhsa.kernels:
  - .args:
      - .actual_access:  read_only
        .address_space:  global
        .offset:         0
        .size:           8
        .value_kind:     global_buffer
      - .offset:         8
        .size:           8
        .value_kind:     by_value
      - .actual_access:  read_only
        .address_space:  global
        .offset:         16
        .size:           8
        .value_kind:     global_buffer
      - .actual_access:  read_only
        .address_space:  global
        .offset:         24
        .size:           8
        .value_kind:     global_buffer
      - .actual_access:  read_only
        .address_space:  global
        .offset:         32
        .size:           8
        .value_kind:     global_buffer
      - .offset:         40
        .size:           8
        .value_kind:     by_value
      - .actual_access:  read_only
        .address_space:  global
        .offset:         48
        .size:           8
        .value_kind:     global_buffer
      - .actual_access:  read_only
        .address_space:  global
        .offset:         56
        .size:           8
        .value_kind:     global_buffer
      - .offset:         64
        .size:           4
        .value_kind:     by_value
      - .actual_access:  read_only
        .address_space:  global
        .offset:         72
        .size:           8
        .value_kind:     global_buffer
      - .actual_access:  read_only
        .address_space:  global
        .offset:         80
        .size:           8
        .value_kind:     global_buffer
      - .actual_access:  read_only
        .address_space:  global
        .offset:         88
        .size:           8
        .value_kind:     global_buffer
      - .actual_access:  write_only
        .address_space:  global
        .offset:         96
        .size:           8
        .value_kind:     global_buffer
    .group_segment_fixed_size: 0
    .kernarg_segment_align: 8
    .kernarg_segment_size: 104
    .language:       OpenCL C
    .language_version:
      - 2
      - 0
    .max_flat_workgroup_size: 132
    .name:           fft_rtc_fwd_len1452_factors_11_3_11_4_wgs_132_tpt_132_halfLds_dp_op_CI_CI_unitstride_sbrr_dirReg
    .private_segment_fixed_size: 0
    .sgpr_count:     40
    .sgpr_spill_count: 0
    .symbol:         fft_rtc_fwd_len1452_factors_11_3_11_4_wgs_132_tpt_132_halfLds_dp_op_CI_CI_unitstride_sbrr_dirReg.kd
    .uniform_work_group_size: 1
    .uses_dynamic_stack: false
    .vgpr_count:     145
    .vgpr_spill_count: 0
    .wavefront_size: 32
    .workgroup_processor_mode: 1
amdhsa.target:   amdgcn-amd-amdhsa--gfx1030
amdhsa.version:
  - 1
  - 2
...

	.end_amdgpu_metadata
